;; amdgpu-corpus repo=ROCm/rocFFT kind=compiled arch=gfx950 opt=O3
	.text
	.amdgcn_target "amdgcn-amd-amdhsa--gfx950"
	.amdhsa_code_object_version 6
	.protected	fft_rtc_fwd_len26_factors_13_2_wgs_64_tpt_2_dim1_dp_op_CI_CI_unitstride_sbrr_R2C_dirReg ; -- Begin function fft_rtc_fwd_len26_factors_13_2_wgs_64_tpt_2_dim1_dp_op_CI_CI_unitstride_sbrr_R2C_dirReg
	.globl	fft_rtc_fwd_len26_factors_13_2_wgs_64_tpt_2_dim1_dp_op_CI_CI_unitstride_sbrr_R2C_dirReg
	.p2align	8
	.type	fft_rtc_fwd_len26_factors_13_2_wgs_64_tpt_2_dim1_dp_op_CI_CI_unitstride_sbrr_R2C_dirReg,@function
fft_rtc_fwd_len26_factors_13_2_wgs_64_tpt_2_dim1_dp_op_CI_CI_unitstride_sbrr_R2C_dirReg: ; @fft_rtc_fwd_len26_factors_13_2_wgs_64_tpt_2_dim1_dp_op_CI_CI_unitstride_sbrr_R2C_dirReg
; %bb.0:
	s_load_dwordx2 s[4:5], s[0:1], 0x20
	v_lshrrev_b32_e32 v1, 1, v0
	v_lshl_or_b32 v58, s2, 5, v1
	v_mov_b32_e32 v59, 0
	v_and_b32_e32 v56, 1, v0
	s_waitcnt lgkmcnt(0)
	v_cmp_gt_u64_e32 vcc, s[4:5], v[58:59]
	v_cmp_le_u64_e64 s[2:3], s[4:5], v[58:59]
                                        ; implicit-def: $vgpr68
                                        ; implicit-def: $vgpr66
                                        ; implicit-def: $vgpr64
                                        ; implicit-def: $vgpr62
                                        ; implicit-def: $vgpr60
	s_and_saveexec_b64 s[4:5], s[2:3]
	s_xor_b64 s[2:3], exec, s[4:5]
; %bb.1:
	v_and_b32_e32 v56, 1, v0
	v_or_b32_e32 v68, 2, v56
	v_or_b32_e32 v66, 4, v56
	;; [unrolled: 1-line block ×5, first 2 shown]
; %bb.2:
	s_or_saveexec_b64 s[2:3], s[2:3]
	s_load_dwordx2 s[4:5], s[0:1], 0x18
	s_load_dwordx2 s[6:7], s[0:1], 0x0
	v_mul_u32_u24_e32 v0, 27, v1
	v_lshlrev_b32_e32 v0, 4, v0
	s_xor_b64 exec, exec, s[2:3]
	s_cbranch_execz .LBB0_4
; %bb.3:
	s_load_dwordx2 s[8:9], s[0:1], 0x10
	s_load_dwordx2 s[10:11], s[0:1], 0x50
	v_lshlrev_b32_e32 v54, 4, v56
	v_mov_b32_e32 v55, 0
	v_or_b32_e32 v68, 2, v56
	s_waitcnt lgkmcnt(0)
	s_load_dwordx2 s[8:9], s[8:9], 0x8
	v_or_b32_e32 v66, 4, v56
	v_or_b32_e32 v64, 6, v56
	;; [unrolled: 1-line block ×3, first 2 shown]
	v_add3_u32 v1, 0, v0, v54
	s_waitcnt lgkmcnt(0)
	v_mad_u64_u32 v[2:3], s[12:13], s8, v58, 0
	v_mov_b32_e32 v4, v3
	v_mad_u64_u32 v[4:5], s[8:9], s9, v58, v[4:5]
	v_mov_b32_e32 v3, v4
	v_lshl_add_u64 v[2:3], v[2:3], 4, s[10:11]
	v_lshl_add_u64 v[60:61], v[2:3], 0, v[54:55]
	global_load_dwordx4 v[2:5], v[60:61], off
	global_load_dwordx4 v[6:9], v[60:61], off offset:32
	global_load_dwordx4 v[10:13], v[60:61], off offset:64
	;; [unrolled: 1-line block ×12, first 2 shown]
	v_or_b32_e32 v60, 10, v56
	s_waitcnt vmcnt(12)
	ds_write_b128 v1, v[2:5]
	s_waitcnt vmcnt(11)
	ds_write_b128 v1, v[6:9] offset:32
	s_waitcnt vmcnt(10)
	ds_write_b128 v1, v[10:13] offset:64
	;; [unrolled: 2-line block ×12, first 2 shown]
.LBB0_4:
	s_or_b64 exec, exec, s[2:3]
	v_add_u32_e32 v59, 0, v0
	v_lshlrev_b32_e32 v89, 4, v56
	v_add_u32_e32 v88, v59, v89
	s_waitcnt lgkmcnt(0)
	s_load_dwordx2 s[8:9], s[4:5], 0x8
	s_waitcnt lgkmcnt(0)
	; wave barrier
	s_waitcnt lgkmcnt(0)
	v_add3_u32 v90, 0, v89, v0
	ds_read_b128 v[4:7], v88
	ds_read_b128 v[40:43], v90 offset:32
	ds_read_b128 v[36:39], v90 offset:64
	;; [unrolled: 1-line block ×9, first 2 shown]
	s_waitcnt lgkmcnt(8)
	v_add_f64 v[0:1], v[4:5], v[40:41]
	s_waitcnt lgkmcnt(7)
	v_add_f64 v[0:1], v[0:1], v[36:37]
	v_add_f64 v[2:3], v[6:7], v[42:43]
	s_waitcnt lgkmcnt(6)
	v_add_f64 v[0:1], v[0:1], v[32:33]
	;; [unrolled: 3-line block ×4, first 2 shown]
	ds_read_b128 v[48:51], v90 offset:320
	ds_read_b128 v[44:47], v90 offset:352
	v_add_f64 v[2:3], v[2:3], v[26:27]
	s_waitcnt lgkmcnt(5)
	v_add_f64 v[0:1], v[0:1], v[8:9]
	v_add_f64 v[2:3], v[2:3], v[18:19]
	s_waitcnt lgkmcnt(4)
	v_add_f64 v[0:1], v[0:1], v[12:13]
	ds_read_b128 v[72:75], v90 offset:384
	v_add_f64 v[2:3], v[2:3], v[10:11]
	s_waitcnt lgkmcnt(4)
	v_add_f64 v[0:1], v[0:1], v[20:21]
	v_add_f64 v[2:3], v[2:3], v[14:15]
	s_waitcnt lgkmcnt(3)
	v_add_f64 v[0:1], v[0:1], v[28:29]
	;; [unrolled: 3-line block ×4, first 2 shown]
	s_mov_b32 s24, 0x42a4c3d2
	s_mov_b32 s26, 0x66966769
	;; [unrolled: 1-line block ×5, first 2 shown]
	v_add_f64 v[2:3], v[2:3], v[50:51]
	s_waitcnt lgkmcnt(0)
	v_add_f64 v[0:1], v[0:1], v[72:73]
	v_add_f64 v[70:71], v[40:41], v[72:73]
	v_add_f64 v[54:55], v[40:41], -v[72:73]
	v_add_f64 v[72:73], v[42:43], -v[74:75]
	s_mov_b32 s19, 0xbfddbe06
	s_mov_b32 s18, 0x4267c47c
	;; [unrolled: 1-line block ×13, first 2 shown]
	v_add_f64 v[2:3], v[2:3], v[46:47]
	v_add_f64 v[40:41], v[38:39], v[46:47]
	v_add_f64 v[38:39], v[38:39], -v[46:47]
	v_add_f64 v[46:47], v[32:33], v[48:49]
	v_add_f64 v[32:33], v[32:33], -v[48:49]
	;; [unrolled: 2-line block ×5, first 2 shown]
	s_mov_b32 s11, 0x3fec55a7
	v_mul_f64 v[8:9], v[72:73], s[18:19]
	s_mov_b32 s5, 0x3fe22d96
	v_mul_f64 v[12:13], v[72:73], s[24:25]
	;; [unrolled: 2-line block ×5, first 2 shown]
	v_mul_f64 v[94:95], v[72:73], s[30:31]
	s_mov_b32 s23, 0xbfef11f4
	v_add_f64 v[2:3], v[2:3], v[74:75]
	v_add_f64 v[52:53], v[42:43], v[74:75]
	;; [unrolled: 1-line block ×3, first 2 shown]
	v_add_f64 v[36:37], v[36:37], -v[44:45]
	v_add_f64 v[44:45], v[34:35], v[50:51]
	v_add_f64 v[34:35], v[34:35], -v[50:51]
	v_add_f64 v[50:51], v[24:25], v[28:29]
	;; [unrolled: 2-line block ×4, first 2 shown]
	v_add_f64 v[80:81], v[10:11], -v[14:15]
	v_fma_f64 v[10:11], v[70:71], s[10:11], -v[8:9]
	v_fmac_f64_e32 v[8:9], s[10:11], v[70:71]
	v_fma_f64 v[14:15], v[70:71], s[4:5], -v[12:13]
	v_fmac_f64_e32 v[12:13], s[4:5], v[70:71]
	;; [unrolled: 2-line block ×6, first 2 shown]
	v_mul_f64 v[70:71], v[54:55], s[18:19]
	v_mul_f64 v[98:99], v[54:55], s[24:25]
	;; [unrolled: 1-line block ×6, first 2 shown]
	v_fma_f64 v[96:97], s[10:11], v[52:53], v[70:71]
	v_fma_f64 v[70:71], v[52:53], s[10:11], -v[70:71]
	v_fma_f64 v[100:101], s[4:5], v[52:53], v[98:99]
	v_fma_f64 v[98:99], v[52:53], s[4:5], -v[98:99]
	;; [unrolled: 2-line block ×6, first 2 shown]
	v_add_f64 v[10:11], v[4:5], v[10:11]
	v_add_f64 v[116:117], v[4:5], v[8:9]
	;; [unrolled: 1-line block ×12, first 2 shown]
	v_mul_f64 v[4:5], v[38:39], s[24:25]
	v_add_f64 v[96:97], v[6:7], v[96:97]
	v_add_f64 v[118:119], v[6:7], v[70:71]
	;; [unrolled: 1-line block ×12, first 2 shown]
	v_fma_f64 v[6:7], v[42:43], s[4:5], -v[4:5]
	v_mul_f64 v[16:17], v[36:37], s[24:25]
	v_mul_f64 v[18:19], v[34:35], s[26:27]
	v_add_f64 v[6:7], v[6:7], v[10:11]
	v_fma_f64 v[8:9], s[4:5], v[40:41], v[16:17]
	v_fma_f64 v[10:11], v[46:47], s[2:3], -v[18:19]
	v_mul_f64 v[92:93], v[32:33], s[26:27]
	v_add_f64 v[8:9], v[8:9], v[96:97]
	v_add_f64 v[6:7], v[10:11], v[6:7]
	v_fma_f64 v[10:11], s[2:3], v[44:45], v[92:93]
	v_mul_f64 v[94:95], v[26:27], s[16:17]
	v_add_f64 v[8:9], v[10:11], v[8:9]
	v_fma_f64 v[10:11], v[50:51], s[12:13], -v[94:95]
	v_mul_f64 v[96:97], v[24:25], s[16:17]
	v_add_f64 v[6:7], v[10:11], v[6:7]
	v_fma_f64 v[10:11], s[12:13], v[48:49], v[96:97]
	v_mul_f64 v[110:111], v[22:23], s[20:21]
	v_fmac_f64_e32 v[4:5], s[4:5], v[42:43]
	v_add_f64 v[8:9], v[10:11], v[8:9]
	v_fma_f64 v[10:11], v[30:31], s[14:15], -v[110:111]
	v_mul_f64 v[112:113], v[20:21], s[20:21]
	v_add_f64 v[4:5], v[4:5], v[116:117]
	v_fma_f64 v[16:17], v[40:41], s[4:5], -v[16:17]
	v_fmac_f64_e32 v[18:19], s[2:3], v[46:47]
	v_add_f64 v[6:7], v[10:11], v[6:7]
	v_fma_f64 v[10:11], s[14:15], v[28:29], v[112:113]
	v_mul_f64 v[114:115], v[80:81], s[30:31]
	v_add_f64 v[16:17], v[16:17], v[118:119]
	v_add_f64 v[4:5], v[18:19], v[4:5]
	v_fma_f64 v[18:19], v[44:45], s[2:3], -v[92:93]
	v_add_f64 v[10:11], v[10:11], v[8:9]
	v_fma_f64 v[8:9], v[76:77], s[22:23], -v[114:115]
	;; [unrolled: 2-line block ×3, first 2 shown]
	v_add_f64 v[8:9], v[8:9], v[6:7]
	v_mul_f64 v[6:7], v[78:79], s[30:31]
	v_add_f64 v[16:17], v[18:19], v[16:17]
	v_fma_f64 v[18:19], v[28:29], s[14:15], -v[112:113]
	v_fma_f64 v[130:131], s[22:23], v[74:75], v[6:7]
	v_fmac_f64_e32 v[94:95], s[12:13], v[50:51]
	v_add_f64 v[16:17], v[18:19], v[16:17]
	v_fma_f64 v[6:7], v[74:75], s[22:23], -v[6:7]
	v_mul_f64 v[92:93], v[38:39], s[16:17]
	v_add_f64 v[4:5], v[94:95], v[4:5]
	v_add_f64 v[6:7], v[6:7], v[16:17]
	v_fma_f64 v[16:17], v[42:43], s[12:13], -v[92:93]
	v_mul_f64 v[94:95], v[36:37], s[16:17]
	v_add_f64 v[14:15], v[16:17], v[14:15]
	v_fma_f64 v[16:17], s[12:13], v[40:41], v[94:95]
	v_mul_f64 v[96:97], v[34:35], s[30:31]
	v_fmac_f64_e32 v[110:111], s[14:15], v[30:31]
	v_add_f64 v[16:17], v[16:17], v[100:101]
	v_fma_f64 v[18:19], v[46:47], s[22:23], -v[96:97]
	v_mul_f64 v[100:101], v[32:33], s[30:31]
	s_mov_b32 s35, 0x3fe5384d
	s_mov_b32 s34, s20
	v_add_f64 v[4:5], v[110:111], v[4:5]
	v_add_f64 v[14:15], v[18:19], v[14:15]
	v_fma_f64 v[18:19], s[22:23], v[44:45], v[100:101]
	v_mul_f64 v[110:111], v[26:27], s[34:35]
	v_fmac_f64_e32 v[114:115], s[22:23], v[76:77]
	v_add_f64 v[16:17], v[18:19], v[16:17]
	v_fma_f64 v[18:19], v[50:51], s[14:15], -v[110:111]
	v_mul_f64 v[112:113], v[24:25], s[34:35]
	s_mov_b32 s29, 0x3fefc445
	s_mov_b32 s28, s26
	v_add_f64 v[4:5], v[114:115], v[4:5]
	v_add_f64 v[14:15], v[18:19], v[14:15]
	v_fma_f64 v[18:19], s[14:15], v[48:49], v[112:113]
	v_mul_f64 v[114:115], v[22:23], s[28:29]
	v_fmac_f64_e32 v[92:93], s[12:13], v[42:43]
	v_add_f64 v[16:17], v[18:19], v[16:17]
	v_fma_f64 v[18:19], v[30:31], s[2:3], -v[114:115]
	v_mul_f64 v[116:117], v[20:21], s[28:29]
	s_mov_b32 s19, 0x3fddbe06
	v_add_f64 v[12:13], v[92:93], v[12:13]
	v_fma_f64 v[92:93], v[40:41], s[12:13], -v[94:95]
	v_add_f64 v[14:15], v[18:19], v[14:15]
	v_fma_f64 v[18:19], s[2:3], v[28:29], v[116:117]
	v_mul_f64 v[118:119], v[80:81], s[18:19]
	v_add_f64 v[92:93], v[92:93], v[98:99]
	v_fma_f64 v[94:95], v[44:45], s[22:23], -v[100:101]
	v_add_f64 v[18:19], v[18:19], v[16:17]
	v_fma_f64 v[16:17], v[76:77], s[10:11], -v[118:119]
	;; [unrolled: 2-line block ×3, first 2 shown]
	v_add_f64 v[16:17], v[16:17], v[14:15]
	v_mul_f64 v[14:15], v[78:79], s[18:19]
	v_fmac_f64_e32 v[96:97], s[22:23], v[46:47]
	v_add_f64 v[92:93], v[94:95], v[92:93]
	v_fma_f64 v[94:95], v[28:29], s[2:3], -v[116:117]
	v_add_f64 v[10:11], v[130:131], v[10:11]
	v_fma_f64 v[130:131], s[10:11], v[74:75], v[14:15]
	v_add_f64 v[12:13], v[96:97], v[12:13]
	v_add_f64 v[92:93], v[94:95], v[92:93]
	v_fma_f64 v[14:15], v[74:75], s[10:11], -v[14:15]
	v_mul_f64 v[96:97], v[38:39], s[30:31]
	v_mul_f64 v[98:99], v[36:37], s[30:31]
	s_mov_b32 s37, 0x3fedeba7
	s_mov_b32 s36, s16
	v_add_f64 v[14:15], v[14:15], v[92:93]
	v_fma_f64 v[92:93], v[42:43], s[22:23], -v[96:97]
	v_fma_f64 v[94:95], s[22:23], v[40:41], v[98:99]
	v_mul_f64 v[100:101], v[34:35], s[36:37]
	v_add_f64 v[92:93], v[92:93], v[120:121]
	v_add_f64 v[94:95], v[94:95], v[104:105]
	v_fma_f64 v[104:105], v[46:47], s[12:13], -v[100:101]
	v_fmac_f64_e32 v[110:111], s[14:15], v[50:51]
	v_add_f64 v[92:93], v[104:105], v[92:93]
	v_mul_f64 v[104:105], v[32:33], s[36:37]
	v_add_f64 v[12:13], v[110:111], v[12:13]
	v_fma_f64 v[110:111], s[12:13], v[44:45], v[104:105]
	v_add_f64 v[94:95], v[110:111], v[94:95]
	v_mul_f64 v[110:111], v[26:27], s[18:19]
	v_fma_f64 v[112:113], v[50:51], s[10:11], -v[110:111]
	v_fmac_f64_e32 v[114:115], s[2:3], v[30:31]
	v_add_f64 v[92:93], v[112:113], v[92:93]
	v_mul_f64 v[112:113], v[24:25], s[18:19]
	v_add_f64 v[12:13], v[114:115], v[12:13]
	v_fma_f64 v[114:115], s[10:11], v[48:49], v[112:113]
	v_add_f64 v[94:95], v[114:115], v[94:95]
	v_mul_f64 v[114:115], v[22:23], s[24:25]
	v_fma_f64 v[116:117], v[30:31], s[4:5], -v[114:115]
	v_fmac_f64_e32 v[118:119], s[10:11], v[76:77]
	v_add_f64 v[92:93], v[116:117], v[92:93]
	v_mul_f64 v[116:117], v[20:21], s[24:25]
	v_fmac_f64_e32 v[96:97], s[22:23], v[42:43]
	v_add_f64 v[12:13], v[118:119], v[12:13]
	v_fma_f64 v[118:119], s[4:5], v[28:29], v[116:117]
	v_add_f64 v[96:97], v[96:97], v[122:123]
	v_fma_f64 v[98:99], v[40:41], s[22:23], -v[98:99]
	v_fmac_f64_e32 v[100:101], s[12:13], v[46:47]
	v_add_f64 v[94:95], v[118:119], v[94:95]
	v_mul_f64 v[118:119], v[80:81], s[20:21]
	v_add_f64 v[98:99], v[98:99], v[102:103]
	v_add_f64 v[96:97], v[100:101], v[96:97]
	v_fma_f64 v[100:101], v[44:45], s[12:13], -v[104:105]
	v_fma_f64 v[120:121], v[76:77], s[14:15], -v[118:119]
	v_add_f64 v[98:99], v[100:101], v[98:99]
	v_fmac_f64_e32 v[110:111], s[10:11], v[50:51]
	v_fma_f64 v[100:101], v[48:49], s[10:11], -v[112:113]
	v_add_f64 v[92:93], v[120:121], v[92:93]
	v_mul_f64 v[120:121], v[78:79], s[20:21]
	v_add_f64 v[96:97], v[110:111], v[96:97]
	v_add_f64 v[98:99], v[100:101], v[98:99]
	v_fma_f64 v[100:101], v[28:29], s[4:5], -v[116:117]
	v_mul_f64 v[110:111], v[36:37], s[34:35]
	v_add_f64 v[98:99], v[100:101], v[98:99]
	v_fma_f64 v[100:101], v[74:75], s[14:15], -v[120:121]
	v_mul_f64 v[104:105], v[38:39], s[34:35]
	v_fma_f64 v[102:103], s[14:15], v[40:41], v[110:111]
	v_add_f64 v[98:99], v[100:101], v[98:99]
	v_fma_f64 v[100:101], v[42:43], s[14:15], -v[104:105]
	v_add_f64 v[102:103], v[102:103], v[108:109]
	v_mul_f64 v[108:109], v[34:35], s[18:19]
	v_add_f64 v[100:101], v[100:101], v[124:125]
	v_fma_f64 v[112:113], v[46:47], s[10:11], -v[108:109]
	v_fmac_f64_e32 v[114:115], s[4:5], v[30:31]
	v_add_f64 v[100:101], v[112:113], v[100:101]
	v_mul_f64 v[112:113], v[32:33], s[18:19]
	v_add_f64 v[96:97], v[114:115], v[96:97]
	v_fma_f64 v[114:115], s[10:11], v[44:45], v[112:113]
	v_add_f64 v[102:103], v[114:115], v[102:103]
	v_mul_f64 v[114:115], v[26:27], s[26:27]
	v_fma_f64 v[116:117], v[50:51], s[2:3], -v[114:115]
	v_fmac_f64_e32 v[118:119], s[14:15], v[76:77]
	v_add_f64 v[100:101], v[116:117], v[100:101]
	v_mul_f64 v[116:117], v[24:25], s[26:27]
	v_add_f64 v[96:97], v[118:119], v[96:97]
	v_fma_f64 v[118:119], s[2:3], v[48:49], v[116:117]
	s_mov_b32 s31, 0x3fcea1e5
	v_add_f64 v[102:103], v[118:119], v[102:103]
	v_mul_f64 v[118:119], v[22:23], s[30:31]
	v_add_f64 v[18:19], v[130:131], v[18:19]
	v_fma_f64 v[130:131], s[14:15], v[74:75], v[120:121]
	v_fma_f64 v[120:121], v[30:31], s[22:23], -v[118:119]
	v_add_f64 v[100:101], v[120:121], v[100:101]
	v_mul_f64 v[120:121], v[20:21], s[30:31]
	v_fmac_f64_e32 v[104:105], s[14:15], v[42:43]
	v_fma_f64 v[122:123], s[22:23], v[28:29], v[120:121]
	s_mov_b32 s27, 0x3fea55e2
	s_mov_b32 s26, s24
	v_add_f64 v[104:105], v[104:105], v[126:127]
	v_fma_f64 v[110:111], v[40:41], s[14:15], -v[110:111]
	v_fmac_f64_e32 v[108:109], s[10:11], v[46:47]
	v_add_f64 v[102:103], v[122:123], v[102:103]
	v_mul_f64 v[122:123], v[80:81], s[26:27]
	v_add_f64 v[106:107], v[110:111], v[106:107]
	v_add_f64 v[104:105], v[108:109], v[104:105]
	v_fma_f64 v[108:109], v[44:45], s[10:11], -v[112:113]
	v_fma_f64 v[124:125], v[76:77], s[4:5], -v[122:123]
	v_add_f64 v[106:107], v[108:109], v[106:107]
	v_fma_f64 v[108:109], v[48:49], s[2:3], -v[116:117]
	v_add_f64 v[100:101], v[124:125], v[100:101]
	v_mul_f64 v[124:125], v[78:79], s[26:27]
	v_fmac_f64_e32 v[114:115], s[2:3], v[50:51]
	v_add_f64 v[106:107], v[108:109], v[106:107]
	v_fma_f64 v[108:109], v[28:29], s[22:23], -v[120:121]
	v_add_f64 v[104:105], v[114:115], v[104:105]
	v_add_f64 v[106:107], v[108:109], v[106:107]
	v_fma_f64 v[108:109], v[74:75], s[4:5], -v[124:125]
	v_mul_f64 v[112:113], v[38:39], s[28:29]
	v_mul_f64 v[114:115], v[36:37], s[28:29]
	v_fmac_f64_e32 v[118:119], s[22:23], v[30:31]
	v_add_f64 v[106:107], v[108:109], v[106:107]
	v_fma_f64 v[108:109], v[42:43], s[2:3], -v[112:113]
	v_fma_f64 v[110:111], s[2:3], v[40:41], v[114:115]
	v_mul_f64 v[116:117], v[34:35], s[24:25]
	v_add_f64 v[104:105], v[118:119], v[104:105]
	v_add_f64 v[108:109], v[108:109], v[128:129]
	;; [unrolled: 1-line block ×3, first 2 shown]
	v_fma_f64 v[110:111], v[46:47], s[4:5], -v[116:117]
	v_mul_f64 v[118:119], v[32:33], s[24:25]
	v_fmac_f64_e32 v[122:123], s[4:5], v[76:77]
	v_add_f64 v[108:109], v[110:111], v[108:109]
	v_fma_f64 v[110:111], s[4:5], v[44:45], v[118:119]
	v_mul_f64 v[120:121], v[26:27], s[30:31]
	v_add_f64 v[104:105], v[122:123], v[104:105]
	v_add_f64 v[86:87], v[110:111], v[86:87]
	v_fma_f64 v[110:111], v[50:51], s[22:23], -v[120:121]
	v_mul_f64 v[122:123], v[24:25], s[30:31]
	v_add_f64 v[94:95], v[130:131], v[94:95]
	v_fma_f64 v[130:131], s[4:5], v[74:75], v[124:125]
	v_add_f64 v[108:109], v[110:111], v[108:109]
	v_fma_f64 v[110:111], s[22:23], v[48:49], v[122:123]
	v_mul_f64 v[124:125], v[22:23], s[18:19]
	v_add_f64 v[86:87], v[110:111], v[86:87]
	v_fma_f64 v[110:111], v[30:31], s[10:11], -v[124:125]
	v_mul_f64 v[126:127], v[20:21], s[18:19]
	v_add_f64 v[108:109], v[110:111], v[108:109]
	v_fma_f64 v[110:111], s[10:11], v[28:29], v[126:127]
	v_mul_f64 v[128:129], v[80:81], s[16:17]
	v_add_f64 v[102:103], v[130:131], v[102:103]
	v_add_f64 v[86:87], v[110:111], v[86:87]
	v_fma_f64 v[110:111], v[76:77], s[12:13], -v[128:129]
	v_mul_f64 v[130:131], v[78:79], s[16:17]
	v_add_f64 v[108:109], v[110:111], v[108:109]
	v_fma_f64 v[110:111], s[12:13], v[74:75], v[130:131]
	v_fmac_f64_e32 v[112:113], s[2:3], v[42:43]
	v_add_f64 v[110:111], v[110:111], v[86:87]
	v_add_f64 v[84:85], v[112:113], v[84:85]
	v_fma_f64 v[86:87], v[40:41], s[2:3], -v[114:115]
	v_fmac_f64_e32 v[116:117], s[4:5], v[46:47]
	v_add_f64 v[82:83], v[86:87], v[82:83]
	v_add_f64 v[84:85], v[116:117], v[84:85]
	v_fma_f64 v[86:87], v[44:45], s[4:5], -v[118:119]
	;; [unrolled: 4-line block ×5, first 2 shown]
	v_mul_f64 v[38:39], v[38:39], s[18:19]
	v_add_f64 v[84:85], v[84:85], v[86:87]
	v_fma_f64 v[86:87], v[42:43], s[10:11], -v[38:39]
	v_mul_f64 v[36:37], v[36:37], s[18:19]
	v_add_f64 v[72:73], v[86:87], v[72:73]
	v_fma_f64 v[86:87], s[10:11], v[40:41], v[36:37]
	v_mul_f64 v[34:35], v[34:35], s[20:21]
	v_add_f64 v[70:71], v[86:87], v[70:71]
	v_fma_f64 v[86:87], v[46:47], s[14:15], -v[34:35]
	v_mul_f64 v[32:33], v[32:33], s[20:21]
	v_add_f64 v[72:73], v[86:87], v[72:73]
	v_fma_f64 v[86:87], s[14:15], v[44:45], v[32:33]
	;; [unrolled: 6-line block ×3, first 2 shown]
	v_add_f64 v[70:71], v[86:87], v[70:71]
	v_mul_f64 v[86:87], v[22:23], s[16:17]
	v_fma_f64 v[22:23], v[30:31], s[12:13], -v[86:87]
	v_fmac_f64_e32 v[38:39], s[10:11], v[42:43]
	v_fma_f64 v[36:37], v[40:41], s[10:11], -v[36:37]
	v_add_f64 v[22:23], v[22:23], v[72:73]
	v_mul_f64 v[72:73], v[20:21], s[16:17]
	v_add_f64 v[38:39], v[38:39], v[54:55]
	v_add_f64 v[36:37], v[36:37], v[52:53]
	v_fmac_f64_e32 v[34:35], s[14:15], v[46:47]
	v_fma_f64 v[32:33], v[44:45], s[14:15], -v[32:33]
	v_fma_f64 v[20:21], s[12:13], v[28:29], v[72:73]
	v_mul_f64 v[80:81], v[80:81], s[28:29]
	v_add_f64 v[34:35], v[34:35], v[38:39]
	v_add_f64 v[32:33], v[32:33], v[36:37]
	v_fmac_f64_e32 v[26:27], s[4:5], v[50:51]
	v_fma_f64 v[24:25], v[48:49], s[4:5], -v[24:25]
	v_add_f64 v[70:71], v[20:21], v[70:71]
	v_fma_f64 v[20:21], v[76:77], s[2:3], -v[80:81]
	v_mul_f64 v[78:79], v[78:79], s[28:29]
	v_add_f64 v[26:27], v[26:27], v[34:35]
	v_add_f64 v[24:25], v[24:25], v[32:33]
	v_fmac_f64_e32 v[86:87], s[12:13], v[30:31]
	v_fma_f64 v[28:29], v[28:29], s[12:13], -v[72:73]
	v_add_f64 v[20:21], v[20:21], v[22:23]
	v_fma_f64 v[22:23], s[2:3], v[74:75], v[78:79]
	v_add_f64 v[26:27], v[86:87], v[26:27]
	v_add_f64 v[28:29], v[28:29], v[24:25]
	v_fmac_f64_e32 v[80:81], s[2:3], v[76:77]
	v_fma_f64 v[30:31], v[74:75], s[2:3], -v[78:79]
	s_movk_i32 s2, 0xd0
	v_add_f64 v[22:23], v[22:23], v[70:71]
	v_add_f64 v[24:25], v[80:81], v[26:27]
	;; [unrolled: 1-line block ×3, first 2 shown]
	v_mad_u32_u24 v28, v56, s2, v59
	v_lshl_add_u32 v77, v66, 4, v59
	v_lshl_add_u32 v75, v62, 4, v59
	s_waitcnt lgkmcnt(0)
	; wave barrier
	ds_write_b128 v28, v[0:3]
	ds_write_b128 v28, v[8:11] offset:16
	ds_write_b128 v28, v[16:19] offset:32
	ds_write_b128 v28, v[92:95] offset:48
	ds_write_b128 v28, v[100:103] offset:64
	ds_write_b128 v28, v[108:111] offset:80
	ds_write_b128 v28, v[20:23] offset:96
	ds_write_b128 v28, v[24:27] offset:112
	ds_write_b128 v28, v[82:85] offset:128
	ds_write_b128 v28, v[104:107] offset:144
	ds_write_b128 v28, v[96:99] offset:160
	ds_write_b128 v28, v[12:15] offset:176
	ds_write_b128 v28, v[4:7] offset:192
	s_waitcnt lgkmcnt(0)
	; wave barrier
	s_waitcnt lgkmcnt(0)
	ds_read_b128 v[24:27], v88
	ds_read_b128 v[48:51], v90 offset:208
	v_lshl_add_u32 v78, v68, 4, v59
	ds_read_b128 v[32:35], v90 offset:240
	ds_read_b128 v[36:39], v90 offset:272
	v_lshl_add_u32 v76, v64, 4, v59
	ds_read_b128 v[12:15], v77
	ds_read_b128 v[8:11], v76
	ds_read_b128 v[40:43], v90 offset:304
	ds_read_b128 v[44:47], v90 offset:336
	v_lshl_add_u32 v74, v60, 4, v59
	ds_read_b128 v[20:23], v75
	ds_read_b128 v[16:19], v74
	;; [unrolled: 1-line block ×3, first 2 shown]
	ds_read_b128 v[52:55], v90 offset:368
	v_cmp_ne_u32_e64 s[4:5], 0, v56
	v_cmp_eq_u32_e64 s[2:3], 0, v56
	v_mov_b64_e32 v[70:71], 0
                                        ; implicit-def: $vgpr2_vgpr3
	s_and_saveexec_b64 s[10:11], s[2:3]
	s_cbranch_execz .LBB0_6
; %bb.5:
	ds_read_b128 v[4:7], v59 offset:192
	ds_read_b128 v[0:3], v59 offset:400
	v_mov_b64_e32 v[70:71], 12
.LBB0_6:
	s_or_b64 exec, exec, s[10:11]
	v_mov_b32_e32 v57, 0
	v_mov_b32_e32 v67, v57
	;; [unrolled: 1-line block ×4, first 2 shown]
	v_lshl_add_u64 v[72:73], v[56:57], 4, s[6:7]
	v_mov_b32_e32 v69, v57
	v_lshl_add_u64 v[66:67], v[66:67], 4, s[6:7]
	v_mov_b32_e32 v65, v57
	v_lshl_add_u64 v[62:63], v[62:63], 4, s[6:7]
	v_lshl_add_u64 v[60:61], v[60:61], 4, s[6:7]
	;; [unrolled: 1-line block ×3, first 2 shown]
	global_load_dwordx4 v[80:83], v[72:73], off
	global_load_dwordx4 v[84:87], v[68:69], off
	v_lshl_add_u64 v[64:65], v[64:65], 4, s[6:7]
	global_load_dwordx4 v[92:95], v[66:67], off
	global_load_dwordx4 v[96:99], v[64:65], off
	;; [unrolled: 1-line block ×4, first 2 shown]
	s_waitcnt lgkmcnt(0)
	; wave barrier
	s_waitcnt vmcnt(5) lgkmcnt(0)
	v_mul_f64 v[108:109], v[50:51], v[82:83]
	v_mul_f64 v[82:83], v[48:49], v[82:83]
	v_fma_f64 v[48:49], v[48:49], v[80:81], -v[108:109]
	v_fmac_f64_e32 v[82:83], v[50:51], v[80:81]
	s_waitcnt vmcnt(4)
	v_mul_f64 v[50:51], v[34:35], v[86:87]
	v_mul_f64 v[80:81], v[32:33], v[86:87]
	s_waitcnt vmcnt(3)
	v_mul_f64 v[86:87], v[38:39], v[94:95]
	v_mul_f64 v[94:95], v[36:37], v[94:95]
	;; [unrolled: 3-line block ×5, first 2 shown]
	v_fma_f64 v[50:51], v[32:33], v[84:85], -v[50:51]
	v_fmac_f64_e32 v[80:81], v[34:35], v[84:85]
	v_fma_f64 v[84:85], v[36:37], v[92:93], -v[86:87]
	v_fmac_f64_e32 v[94:95], v[38:39], v[92:93]
	;; [unrolled: 2-line block ×5, first 2 shown]
	v_add_f64 v[32:33], v[24:25], -v[48:49]
	v_add_f64 v[34:35], v[26:27], -v[82:83]
	v_fma_f64 v[24:25], v[24:25], 2.0, -v[32:33]
	v_fma_f64 v[26:27], v[26:27], 2.0, -v[34:35]
	v_add_f64 v[36:37], v[28:29], -v[50:51]
	v_add_f64 v[38:39], v[30:31], -v[80:81]
	;; [unrolled: 1-line block ×10, first 2 shown]
	ds_write_b128 v90, v[32:35] offset:208
	v_fma_f64 v[28:29], v[28:29], 2.0, -v[36:37]
	v_fma_f64 v[30:31], v[30:31], 2.0, -v[38:39]
	;; [unrolled: 1-line block ×10, first 2 shown]
	ds_write_b128 v90, v[24:27]
	ds_write_b128 v78, v[36:39] offset:208
	ds_write_b128 v78, v[28:31]
	ds_write_b128 v77, v[12:15]
	ds_write_b128 v77, v[40:43] offset:208
	ds_write_b128 v76, v[8:11]
	ds_write_b128 v76, v[44:47] offset:208
	;; [unrolled: 2-line block ×4, first 2 shown]
	s_and_saveexec_b64 s[10:11], s[2:3]
	s_cbranch_execz .LBB0_8
; %bb.7:
	v_lshlrev_b32_e32 v8, 4, v70
	global_load_dwordx4 v[8:11], v8, s[6:7]
	s_waitcnt vmcnt(0)
	v_mul_f64 v[12:13], v[0:1], v[10:11]
	v_mul_f64 v[10:11], v[2:3], v[10:11]
	v_fmac_f64_e32 v[12:13], v[2:3], v[8:9]
	v_fma_f64 v[0:1], v[0:1], v[8:9], -v[10:11]
	v_add_f64 v[2:3], v[6:7], -v[12:13]
	v_add_f64 v[0:1], v[4:5], -v[0:1]
	v_fma_f64 v[6:7], v[6:7], 2.0, -v[2:3]
	v_fma_f64 v[4:5], v[4:5], 2.0, -v[0:1]
	ds_write_b128 v59, v[4:7] offset:192
	ds_write_b128 v59, v[0:3] offset:400
.LBB0_8:
	s_or_b64 exec, exec, s[10:11]
	s_waitcnt lgkmcnt(0)
	; wave barrier
	s_waitcnt lgkmcnt(0)
	ds_read_b128 v[8:11], v88
	v_sub_u32_e32 v12, v59, v89
                                        ; implicit-def: $vgpr6_vgpr7
                                        ; implicit-def: $vgpr2_vgpr3
	s_and_saveexec_b64 s[10:11], s[4:5]
	s_xor_b64 s[4:5], exec, s[10:11]
	s_cbranch_execz .LBB0_10
; %bb.9:
	global_load_dwordx4 v[14:17], v[72:73], off offset:208
	ds_read_b128 v[0:3], v12 offset:416
	s_waitcnt lgkmcnt(0)
	v_add_f64 v[4:5], v[8:9], v[0:1]
	v_add_f64 v[0:1], v[8:9], -v[0:1]
	v_add_f64 v[6:7], v[10:11], v[2:3]
	v_add_f64 v[2:3], v[10:11], -v[2:3]
	v_mul_f64 v[8:9], v[0:1], 0.5
	v_mul_f64 v[6:7], v[6:7], 0.5
	;; [unrolled: 1-line block ×3, first 2 shown]
	s_waitcnt vmcnt(0)
	v_mul_f64 v[10:11], v[8:9], v[16:17]
	v_fma_f64 v[2:3], v[6:7], v[16:17], v[0:1]
	v_fma_f64 v[16:17], v[6:7], v[16:17], -v[0:1]
	v_fma_f64 v[0:1], 0.5, v[4:5], v[10:11]
	v_fma_f64 v[4:5], v[4:5], 0.5, -v[10:11]
	v_fma_f64 v[2:3], -v[14:15], v[8:9], v[2:3]
	v_fmac_f64_e32 v[0:1], v[6:7], v[14:15]
	v_fma_f64 v[4:5], -v[6:7], v[14:15], v[4:5]
	v_fma_f64 v[6:7], -v[14:15], v[8:9], v[16:17]
                                        ; implicit-def: $vgpr8_vgpr9
.LBB0_10:
	s_andn2_saveexec_b64 s[4:5], s[4:5]
	s_cbranch_execz .LBB0_12
; %bb.11:
	ds_read_b64 v[6:7], v59 offset:216
	v_mov_b64_e32 v[2:3], 0
	s_waitcnt lgkmcnt(1)
	v_add_f64 v[0:1], v[8:9], v[10:11]
	v_add_f64 v[4:5], v[8:9], -v[10:11]
	s_waitcnt lgkmcnt(0)
	v_xor_b32_e32 v7, 0x80000000, v7
	ds_write_b64 v59, v[6:7] offset:216
	v_mov_b64_e32 v[6:7], v[2:3]
.LBB0_12:
	s_or_b64 exec, exec, s[4:5]
	s_waitcnt lgkmcnt(0)
	global_load_dwordx4 v[8:11], v[68:69], off offset:208
	global_load_dwordx4 v[14:17], v[66:67], off offset:208
	;; [unrolled: 1-line block ×3, first 2 shown]
	ds_write_b128 v88, v[0:3]
	ds_write_b128 v12, v[4:7] offset:416
	ds_read_b128 v[0:3], v78
	ds_read_b128 v[4:7], v12 offset:384
	global_load_dwordx4 v[22:25], v[62:63], off offset:208
	s_waitcnt lgkmcnt(0)
	v_add_f64 v[26:27], v[0:1], v[4:5]
	v_add_f64 v[0:1], v[0:1], -v[4:5]
	v_add_f64 v[28:29], v[2:3], v[6:7]
	v_add_f64 v[2:3], v[2:3], -v[6:7]
	v_mul_f64 v[6:7], v[0:1], 0.5
	v_mul_f64 v[4:5], v[28:29], 0.5
	;; [unrolled: 1-line block ×3, first 2 shown]
	s_waitcnt vmcnt(3)
	v_mul_f64 v[28:29], v[6:7], v[10:11]
	v_fma_f64 v[2:3], v[4:5], v[10:11], v[0:1]
	v_fma_f64 v[10:11], v[4:5], v[10:11], -v[0:1]
	v_fma_f64 v[0:1], 0.5, v[26:27], v[28:29]
	v_fma_f64 v[2:3], -v[8:9], v[6:7], v[2:3]
	v_fma_f64 v[26:27], v[26:27], 0.5, -v[28:29]
	v_fmac_f64_e32 v[0:1], v[4:5], v[8:9]
	v_fma_f64 v[6:7], -v[8:9], v[6:7], v[10:11]
	v_fma_f64 v[4:5], -v[4:5], v[8:9], v[26:27]
	ds_write_b128 v78, v[0:3]
	ds_write_b128 v12, v[4:7] offset:384
	ds_read_b128 v[0:3], v77
	ds_read_b128 v[4:7], v12 offset:352
	global_load_dwordx4 v[8:11], v[60:61], off offset:208
	s_waitcnt lgkmcnt(0)
	v_add_f64 v[26:27], v[0:1], v[4:5]
	v_add_f64 v[0:1], v[0:1], -v[4:5]
	v_add_f64 v[28:29], v[2:3], v[6:7]
	v_add_f64 v[2:3], v[2:3], -v[6:7]
	v_mul_f64 v[6:7], v[0:1], 0.5
	v_mul_f64 v[4:5], v[28:29], 0.5
	v_mul_f64 v[0:1], v[2:3], 0.5
	s_waitcnt vmcnt(3)
	v_mul_f64 v[28:29], v[6:7], v[16:17]
	v_fma_f64 v[2:3], v[4:5], v[16:17], v[0:1]
	v_fma_f64 v[16:17], v[4:5], v[16:17], -v[0:1]
	v_fma_f64 v[0:1], 0.5, v[26:27], v[28:29]
	v_fma_f64 v[2:3], -v[14:15], v[6:7], v[2:3]
	v_fma_f64 v[26:27], v[26:27], 0.5, -v[28:29]
	v_fmac_f64_e32 v[0:1], v[4:5], v[14:15]
	v_fma_f64 v[6:7], -v[14:15], v[6:7], v[16:17]
	v_fma_f64 v[4:5], -v[4:5], v[14:15], v[26:27]
	ds_write_b128 v77, v[0:3]
	ds_write_b128 v12, v[4:7] offset:352
	ds_read_b128 v[0:3], v76
	ds_read_b128 v[4:7], v12 offset:320
	s_waitcnt lgkmcnt(0)
	v_add_f64 v[14:15], v[0:1], v[4:5]
	v_add_f64 v[0:1], v[0:1], -v[4:5]
	v_add_f64 v[16:17], v[2:3], v[6:7]
	v_add_f64 v[2:3], v[2:3], -v[6:7]
	v_mul_f64 v[6:7], v[0:1], 0.5
	v_mul_f64 v[4:5], v[16:17], 0.5
	v_mul_f64 v[0:1], v[2:3], 0.5
	s_waitcnt vmcnt(2)
	v_mul_f64 v[16:17], v[6:7], v[20:21]
	v_fma_f64 v[2:3], v[4:5], v[20:21], v[0:1]
	v_fma_f64 v[20:21], v[4:5], v[20:21], -v[0:1]
	v_fma_f64 v[0:1], 0.5, v[14:15], v[16:17]
	v_fma_f64 v[2:3], -v[18:19], v[6:7], v[2:3]
	v_fma_f64 v[14:15], v[14:15], 0.5, -v[16:17]
	v_fmac_f64_e32 v[0:1], v[4:5], v[18:19]
	v_fma_f64 v[6:7], -v[18:19], v[6:7], v[20:21]
	v_fma_f64 v[4:5], -v[4:5], v[18:19], v[14:15]
	ds_write_b128 v76, v[0:3]
	ds_write_b128 v12, v[4:7] offset:320
	ds_read_b128 v[0:3], v75
	ds_read_b128 v[4:7], v12 offset:288
	;; [unrolled: 22-line block ×3, first 2 shown]
	s_waitcnt lgkmcnt(0)
	v_add_f64 v[14:15], v[0:1], v[4:5]
	v_add_f64 v[0:1], v[0:1], -v[4:5]
	v_add_f64 v[16:17], v[2:3], v[6:7]
	v_add_f64 v[2:3], v[2:3], -v[6:7]
	v_mul_f64 v[6:7], v[0:1], 0.5
	v_mul_f64 v[4:5], v[16:17], 0.5
	;; [unrolled: 1-line block ×3, first 2 shown]
	s_waitcnt vmcnt(0)
	v_mul_f64 v[16:17], v[6:7], v[10:11]
	v_fma_f64 v[2:3], v[4:5], v[10:11], v[0:1]
	v_fma_f64 v[10:11], v[4:5], v[10:11], -v[0:1]
	v_fma_f64 v[0:1], 0.5, v[14:15], v[16:17]
	v_fma_f64 v[2:3], -v[8:9], v[6:7], v[2:3]
	v_fma_f64 v[14:15], v[14:15], 0.5, -v[16:17]
	v_fmac_f64_e32 v[0:1], v[4:5], v[8:9]
	v_fma_f64 v[6:7], -v[8:9], v[6:7], v[10:11]
	v_fma_f64 v[4:5], -v[4:5], v[8:9], v[14:15]
	ds_write_b128 v74, v[0:3]
	ds_write_b128 v12, v[4:7] offset:256
	s_and_saveexec_b64 s[4:5], s[2:3]
	s_cbranch_execz .LBB0_14
; %bb.13:
	ds_read_b128 v[0:3], v59 offset:192
	ds_read_b128 v[4:7], v59 offset:224
	s_load_dwordx4 s[12:15], s[6:7], 0x190
	s_waitcnt lgkmcnt(0)
	v_add_f64 v[8:9], v[0:1], v[4:5]
	v_add_f64 v[0:1], v[0:1], -v[4:5]
	v_add_f64 v[10:11], v[2:3], v[6:7]
	v_add_f64 v[2:3], v[2:3], -v[6:7]
	v_mul_f64 v[6:7], v[0:1], 0.5
	v_mul_f64 v[4:5], v[10:11], 0.5
	v_mul_f64 v[10:11], v[2:3], 0.5
	v_mul_f64 v[12:13], v[6:7], s[14:15]
	v_fma_f64 v[0:1], 0.5, v[8:9], v[12:13]
	v_fma_f64 v[2:3], s[14:15], v[4:5], v[10:11]
	v_fmac_f64_e32 v[0:1], s[12:13], v[4:5]
	v_fma_f64 v[2:3], -s[12:13], v[6:7], v[2:3]
	ds_write_b128 v59, v[0:3] offset:192
	v_fma_f64 v[0:1], v[8:9], 0.5, -v[12:13]
	v_fma_f64 v[2:3], v[4:5], s[14:15], -v[10:11]
	v_fma_f64 v[0:1], -v[4:5], s[12:13], v[0:1]
	v_fma_f64 v[2:3], -s[12:13], v[6:7], v[2:3]
	ds_write_b128 v59, v[0:3] offset:224
.LBB0_14:
	s_or_b64 exec, exec, s[4:5]
	s_waitcnt lgkmcnt(0)
	; wave barrier
	s_waitcnt lgkmcnt(0)
	s_and_saveexec_b64 s[2:3], vcc
	s_cbranch_execz .LBB0_17
; %bb.15:
	v_mad_u64_u32 v[0:1], s[2:3], s8, v58, 0
	v_mov_b32_e32 v2, v1
	s_load_dwordx2 s[0:1], s[0:1], 0x58
	v_mad_u64_u32 v[2:3], s[2:3], s9, v58, v[2:3]
	v_mov_b32_e32 v1, v2
	v_lshl_add_u32 v2, v56, 4, v59
	ds_read_b128 v[4:7], v2
	ds_read_b128 v[8:11], v2 offset:32
	v_mov_b32_e32 v57, 0
	s_waitcnt lgkmcnt(0)
	v_lshl_add_u64 v[0:1], v[0:1], 4, s[0:1]
	v_lshl_add_u64 v[12:13], v[56:57], 4, v[0:1]
	global_store_dwordx4 v[12:13], v[4:7], off
	v_cmp_eq_u32_e32 vcc, 1, v56
	s_nop 0
	v_add_u32_e32 v4, 2, v56
	v_mov_b32_e32 v5, v57
	v_lshl_add_u64 v[4:5], v[4:5], 4, v[0:1]
	global_store_dwordx4 v[4:5], v[8:11], off
	ds_read_b128 v[4:7], v2 offset:64
	s_nop 0
	v_add_u32_e32 v8, 4, v56
	v_mov_b32_e32 v9, v57
	v_lshl_add_u64 v[12:13], v[8:9], 4, v[0:1]
	ds_read_b128 v[8:11], v2 offset:96
	s_waitcnt lgkmcnt(1)
	global_store_dwordx4 v[12:13], v[4:7], off
	s_nop 1
	v_add_u32_e32 v4, 6, v56
	v_mov_b32_e32 v5, v57
	v_lshl_add_u64 v[4:5], v[4:5], 4, v[0:1]
	s_waitcnt lgkmcnt(0)
	global_store_dwordx4 v[4:5], v[8:11], off
	ds_read_b128 v[4:7], v2 offset:128
	s_nop 0
	v_add_u32_e32 v8, 8, v56
	v_mov_b32_e32 v9, v57
	v_lshl_add_u64 v[12:13], v[8:9], 4, v[0:1]
	ds_read_b128 v[8:11], v2 offset:160
	s_waitcnt lgkmcnt(1)
	global_store_dwordx4 v[12:13], v[4:7], off
	s_nop 1
	v_add_u32_e32 v4, 10, v56
	v_mov_b32_e32 v5, v57
	v_lshl_add_u64 v[4:5], v[4:5], 4, v[0:1]
	s_waitcnt lgkmcnt(0)
	global_store_dwordx4 v[4:5], v[8:11], off
	ds_read_b128 v[4:7], v2 offset:192
	s_nop 0
	v_add_u32_e32 v8, 12, v56
	v_mov_b32_e32 v9, v57
	v_lshl_add_u64 v[12:13], v[8:9], 4, v[0:1]
	ds_read_b128 v[8:11], v2 offset:224
	s_waitcnt lgkmcnt(1)
	global_store_dwordx4 v[12:13], v[4:7], off
	s_nop 1
	v_add_u32_e32 v4, 14, v56
	v_mov_b32_e32 v5, v57
	v_lshl_add_u64 v[4:5], v[4:5], 4, v[0:1]
	s_waitcnt lgkmcnt(0)
	global_store_dwordx4 v[4:5], v[8:11], off
	ds_read_b128 v[4:7], v2 offset:256
	s_nop 0
	v_add_u32_e32 v8, 16, v56
	v_mov_b32_e32 v9, v57
	v_lshl_add_u64 v[12:13], v[8:9], 4, v[0:1]
	ds_read_b128 v[8:11], v2 offset:288
	s_waitcnt lgkmcnt(1)
	global_store_dwordx4 v[12:13], v[4:7], off
	s_nop 1
	v_add_u32_e32 v4, 18, v56
	v_mov_b32_e32 v5, v57
	v_lshl_add_u64 v[4:5], v[4:5], 4, v[0:1]
	s_waitcnt lgkmcnt(0)
	global_store_dwordx4 v[4:5], v[8:11], off
	ds_read_b128 v[4:7], v2 offset:320
	s_nop 0
	v_add_u32_e32 v8, 20, v56
	v_mov_b32_e32 v9, v57
	v_lshl_add_u64 v[12:13], v[8:9], 4, v[0:1]
	ds_read_b128 v[8:11], v2 offset:352
	s_waitcnt lgkmcnt(1)
	global_store_dwordx4 v[12:13], v[4:7], off
	s_nop 1
	v_add_u32_e32 v4, 22, v56
	v_mov_b32_e32 v5, v57
	v_lshl_add_u64 v[12:13], v[4:5], 4, v[0:1]
	ds_read_b128 v[4:7], v2 offset:384
	s_waitcnt lgkmcnt(1)
	global_store_dwordx4 v[12:13], v[8:11], off
	s_nop 1
	v_add_u32_e32 v8, 24, v56
	v_mov_b32_e32 v9, v57
	v_lshl_add_u64 v[8:9], v[8:9], 4, v[0:1]
	s_waitcnt lgkmcnt(0)
	global_store_dwordx4 v[8:9], v[4:7], off
	s_and_b64 exec, exec, vcc
	s_cbranch_execz .LBB0_17
; %bb.16:
	ds_read_b128 v[2:5], v2 offset:400
	s_waitcnt lgkmcnt(0)
	global_store_dwordx4 v[0:1], v[2:5], off offset:416
.LBB0_17:
	s_endpgm
	.section	.rodata,"a",@progbits
	.p2align	6, 0x0
	.amdhsa_kernel fft_rtc_fwd_len26_factors_13_2_wgs_64_tpt_2_dim1_dp_op_CI_CI_unitstride_sbrr_R2C_dirReg
		.amdhsa_group_segment_fixed_size 0
		.amdhsa_private_segment_fixed_size 0
		.amdhsa_kernarg_size 96
		.amdhsa_user_sgpr_count 2
		.amdhsa_user_sgpr_dispatch_ptr 0
		.amdhsa_user_sgpr_queue_ptr 0
		.amdhsa_user_sgpr_kernarg_segment_ptr 1
		.amdhsa_user_sgpr_dispatch_id 0
		.amdhsa_user_sgpr_kernarg_preload_length 0
		.amdhsa_user_sgpr_kernarg_preload_offset 0
		.amdhsa_user_sgpr_private_segment_size 0
		.amdhsa_uses_dynamic_stack 0
		.amdhsa_enable_private_segment 0
		.amdhsa_system_sgpr_workgroup_id_x 1
		.amdhsa_system_sgpr_workgroup_id_y 0
		.amdhsa_system_sgpr_workgroup_id_z 0
		.amdhsa_system_sgpr_workgroup_info 0
		.amdhsa_system_vgpr_workitem_id 0
		.amdhsa_next_free_vgpr 132
		.amdhsa_next_free_sgpr 38
		.amdhsa_accum_offset 132
		.amdhsa_reserve_vcc 1
		.amdhsa_float_round_mode_32 0
		.amdhsa_float_round_mode_16_64 0
		.amdhsa_float_denorm_mode_32 3
		.amdhsa_float_denorm_mode_16_64 3
		.amdhsa_dx10_clamp 1
		.amdhsa_ieee_mode 1
		.amdhsa_fp16_overflow 0
		.amdhsa_tg_split 0
		.amdhsa_exception_fp_ieee_invalid_op 0
		.amdhsa_exception_fp_denorm_src 0
		.amdhsa_exception_fp_ieee_div_zero 0
		.amdhsa_exception_fp_ieee_overflow 0
		.amdhsa_exception_fp_ieee_underflow 0
		.amdhsa_exception_fp_ieee_inexact 0
		.amdhsa_exception_int_div_zero 0
	.end_amdhsa_kernel
	.text
.Lfunc_end0:
	.size	fft_rtc_fwd_len26_factors_13_2_wgs_64_tpt_2_dim1_dp_op_CI_CI_unitstride_sbrr_R2C_dirReg, .Lfunc_end0-fft_rtc_fwd_len26_factors_13_2_wgs_64_tpt_2_dim1_dp_op_CI_CI_unitstride_sbrr_R2C_dirReg
                                        ; -- End function
	.section	.AMDGPU.csdata,"",@progbits
; Kernel info:
; codeLenInByte = 6992
; NumSgprs: 44
; NumVgprs: 132
; NumAgprs: 0
; TotalNumVgprs: 132
; ScratchSize: 0
; MemoryBound: 0
; FloatMode: 240
; IeeeMode: 1
; LDSByteSize: 0 bytes/workgroup (compile time only)
; SGPRBlocks: 5
; VGPRBlocks: 16
; NumSGPRsForWavesPerEU: 44
; NumVGPRsForWavesPerEU: 132
; AccumOffset: 132
; Occupancy: 3
; WaveLimiterHint : 1
; COMPUTE_PGM_RSRC2:SCRATCH_EN: 0
; COMPUTE_PGM_RSRC2:USER_SGPR: 2
; COMPUTE_PGM_RSRC2:TRAP_HANDLER: 0
; COMPUTE_PGM_RSRC2:TGID_X_EN: 1
; COMPUTE_PGM_RSRC2:TGID_Y_EN: 0
; COMPUTE_PGM_RSRC2:TGID_Z_EN: 0
; COMPUTE_PGM_RSRC2:TIDIG_COMP_CNT: 0
; COMPUTE_PGM_RSRC3_GFX90A:ACCUM_OFFSET: 32
; COMPUTE_PGM_RSRC3_GFX90A:TG_SPLIT: 0
	.text
	.p2alignl 6, 3212836864
	.fill 256, 4, 3212836864
	.type	__hip_cuid_d8344759cc2e190f,@object ; @__hip_cuid_d8344759cc2e190f
	.section	.bss,"aw",@nobits
	.globl	__hip_cuid_d8344759cc2e190f
__hip_cuid_d8344759cc2e190f:
	.byte	0                               ; 0x0
	.size	__hip_cuid_d8344759cc2e190f, 1

	.ident	"AMD clang version 19.0.0git (https://github.com/RadeonOpenCompute/llvm-project roc-6.4.0 25133 c7fe45cf4b819c5991fe208aaa96edf142730f1d)"
	.section	".note.GNU-stack","",@progbits
	.addrsig
	.addrsig_sym __hip_cuid_d8344759cc2e190f
	.amdgpu_metadata
---
amdhsa.kernels:
  - .agpr_count:     0
    .args:
      - .actual_access:  read_only
        .address_space:  global
        .offset:         0
        .size:           8
        .value_kind:     global_buffer
      - .actual_access:  read_only
        .address_space:  global
        .offset:         8
        .size:           8
        .value_kind:     global_buffer
      - .actual_access:  read_only
        .address_space:  global
        .offset:         16
        .size:           8
        .value_kind:     global_buffer
      - .actual_access:  read_only
        .address_space:  global
        .offset:         24
        .size:           8
        .value_kind:     global_buffer
      - .offset:         32
        .size:           8
        .value_kind:     by_value
      - .actual_access:  read_only
        .address_space:  global
        .offset:         40
        .size:           8
        .value_kind:     global_buffer
      - .actual_access:  read_only
        .address_space:  global
        .offset:         48
        .size:           8
        .value_kind:     global_buffer
      - .offset:         56
        .size:           4
        .value_kind:     by_value
      - .actual_access:  read_only
        .address_space:  global
        .offset:         64
        .size:           8
        .value_kind:     global_buffer
      - .actual_access:  read_only
        .address_space:  global
        .offset:         72
        .size:           8
        .value_kind:     global_buffer
      - .actual_access:  read_only
        .address_space:  global
        .offset:         80
        .size:           8
        .value_kind:     global_buffer
      - .actual_access:  write_only
        .address_space:  global
        .offset:         88
        .size:           8
        .value_kind:     global_buffer
    .group_segment_fixed_size: 0
    .kernarg_segment_align: 8
    .kernarg_segment_size: 96
    .language:       OpenCL C
    .language_version:
      - 2
      - 0
    .max_flat_workgroup_size: 64
    .name:           fft_rtc_fwd_len26_factors_13_2_wgs_64_tpt_2_dim1_dp_op_CI_CI_unitstride_sbrr_R2C_dirReg
    .private_segment_fixed_size: 0
    .sgpr_count:     44
    .sgpr_spill_count: 0
    .symbol:         fft_rtc_fwd_len26_factors_13_2_wgs_64_tpt_2_dim1_dp_op_CI_CI_unitstride_sbrr_R2C_dirReg.kd
    .uniform_work_group_size: 1
    .uses_dynamic_stack: false
    .vgpr_count:     132
    .vgpr_spill_count: 0
    .wavefront_size: 64
amdhsa.target:   amdgcn-amd-amdhsa--gfx950
amdhsa.version:
  - 1
  - 2
...

	.end_amdgpu_metadata
